;; amdgpu-corpus repo=ROCm/rocFFT kind=compiled arch=gfx1201 opt=O3
	.text
	.amdgcn_target "amdgcn-amd-amdhsa--gfx1201"
	.amdhsa_code_object_version 6
	.protected	bluestein_single_back_len1152_dim1_dp_op_CI_CI ; -- Begin function bluestein_single_back_len1152_dim1_dp_op_CI_CI
	.globl	bluestein_single_back_len1152_dim1_dp_op_CI_CI
	.p2align	8
	.type	bluestein_single_back_len1152_dim1_dp_op_CI_CI,@function
bluestein_single_back_len1152_dim1_dp_op_CI_CI: ; @bluestein_single_back_len1152_dim1_dp_op_CI_CI
; %bb.0:
	s_load_b128 s[8:11], s[0:1], 0x28
	v_mul_u32_u24_e32 v1, 0x1c8, v0
	s_mov_b32 s2, exec_lo
	v_mov_b32_e32 v153, 0
	s_delay_alu instid0(VALU_DEP_2) | instskip(NEXT) | instid1(VALU_DEP_1)
	v_lshrrev_b32_e32 v1, 16, v1
	v_add_nc_u32_e32 v152, ttmp9, v1
	s_wait_kmcnt 0x0
	s_delay_alu instid0(VALU_DEP_1)
	v_cmpx_gt_u64_e64 s[8:9], v[152:153]
	s_cbranch_execz .LBB0_18
; %bb.1:
	s_load_b128 s[4:7], s[0:1], 0x18
	v_mul_lo_u16 v1, 0x90, v1
	s_delay_alu instid0(VALU_DEP_1) | instskip(NEXT) | instid1(VALU_DEP_1)
	v_sub_nc_u16 v32, v0, v1
	v_and_b32_e32 v153, 0xffff, v32
	s_delay_alu instid0(VALU_DEP_1)
	v_lshlrev_b32_e32 v154, 4, v153
	s_wait_kmcnt 0x0
	s_load_b128 s[12:15], s[4:5], 0x0
	s_wait_kmcnt 0x0
	v_mad_co_u64_u32 v[0:1], null, s14, v152, 0
	v_mad_co_u64_u32 v[2:3], null, s12, v153, 0
	s_mul_i32 s4, s13, 0xffffd300
	s_mul_u64 s[2:3], s[12:13], 0x1200
	s_sub_co_i32 s4, s4, s12
	s_delay_alu instid0(VALU_DEP_1) | instskip(NEXT) | instid1(VALU_DEP_1)
	v_mad_co_u64_u32 v[4:5], null, s15, v152, v[1:2]
	v_mad_co_u64_u32 v[5:6], null, s13, v153, v[3:4]
	v_mov_b32_e32 v1, v4
	s_delay_alu instid0(VALU_DEP_1) | instskip(NEXT) | instid1(VALU_DEP_3)
	v_lshlrev_b64_e32 v[0:1], 4, v[0:1]
	v_mov_b32_e32 v3, v5
	s_delay_alu instid0(VALU_DEP_2) | instskip(NEXT) | instid1(VALU_DEP_2)
	v_add_co_u32 v0, vcc_lo, s10, v0
	v_lshlrev_b64_e32 v[2:3], 4, v[2:3]
	s_delay_alu instid0(VALU_DEP_4) | instskip(SKIP_1) | instid1(VALU_DEP_2)
	v_add_co_ci_u32_e32 v1, vcc_lo, s11, v1, vcc_lo
	s_load_b128 s[8:11], s[0:1], 0x0
	v_add_co_u32 v24, vcc_lo, v0, v2
	s_wait_alu 0xfffd
	s_delay_alu instid0(VALU_DEP_2) | instskip(NEXT) | instid1(VALU_DEP_2)
	v_add_co_ci_u32_e32 v25, vcc_lo, v1, v3, vcc_lo
	v_add_co_u32 v26, vcc_lo, v24, s2
	s_wait_alu 0xfffd
	s_delay_alu instid0(VALU_DEP_2) | instskip(NEXT) | instid1(VALU_DEP_2)
	v_add_co_ci_u32_e32 v27, vcc_lo, s3, v25, vcc_lo
	;; [unrolled: 4-line block ×3, first 2 shown]
	v_add_co_u32 v30, vcc_lo, v28, s2
	s_wait_alu 0xfffd
	s_delay_alu instid0(VALU_DEP_2)
	v_add_co_ci_u32_e32 v31, vcc_lo, s3, v29, vcc_lo
	s_wait_kmcnt 0x0
	s_clause 0x3
	global_load_b128 v[0:3], v154, s[8:9] offset:9216
	global_load_b128 v[4:7], v154, s[8:9] offset:13824
	global_load_b128 v[12:15], v154, s[8:9]
	global_load_b128 v[8:11], v154, s[8:9] offset:2304
	v_mad_co_u64_u32 v[49:50], null, 0xffffd300, s12, v[30:31]
	s_clause 0x1
	global_load_b128 v[16:19], v154, s[8:9] offset:4608
	global_load_b128 v[20:23], v154, s[8:9] offset:6912
	s_clause 0x3
	global_load_b128 v[33:36], v[24:25], off
	global_load_b128 v[37:40], v[26:27], off
	;; [unrolled: 1-line block ×4, first 2 shown]
	v_add_nc_u32_e32 v50, s4, v50
	v_add_co_u32 v24, vcc_lo, v49, s2
	s_wait_alu 0xfffd
	s_delay_alu instid0(VALU_DEP_2) | instskip(NEXT) | instid1(VALU_DEP_2)
	v_add_co_ci_u32_e32 v25, vcc_lo, s3, v50, vcc_lo
	v_add_co_u32 v28, vcc_lo, v24, s2
	global_load_b128 v[49:52], v[49:50], off
	s_wait_alu 0xfffd
	v_add_co_ci_u32_e32 v29, vcc_lo, s3, v25, vcc_lo
	v_add_co_u32 v61, vcc_lo, v28, s2
	s_wait_alu 0xfffd
	s_delay_alu instid0(VALU_DEP_2)
	v_add_co_ci_u32_e32 v62, vcc_lo, s3, v29, vcc_lo
	global_load_b128 v[53:56], v[24:25], off
	global_load_b128 v[24:27], v154, s[8:9] offset:11520
	global_load_b128 v[57:60], v[28:29], off
	global_load_b128 v[28:31], v154, s[8:9] offset:16128
	global_load_b128 v[61:64], v[61:62], off
	s_load_b128 s[4:7], s[6:7], 0x0
	s_load_b64 s[2:3], s[0:1], 0x38
	v_cmp_gt_u16_e32 vcc_lo, 0x60, v32
	s_wait_loadcnt 0x9
	v_mul_f64_e32 v[65:66], v[35:36], v[14:15]
	v_mul_f64_e32 v[67:68], v[33:34], v[14:15]
	s_wait_loadcnt 0x8
	v_mul_f64_e32 v[69:70], v[39:40], v[18:19]
	v_mul_f64_e32 v[71:72], v[37:38], v[18:19]
	s_wait_loadcnt 0x7
	v_mul_f64_e32 v[73:74], v[43:44], v[2:3]
	v_mul_f64_e32 v[75:76], v[41:42], v[2:3]
	s_wait_loadcnt 0x6
	v_mul_f64_e32 v[77:78], v[47:48], v[6:7]
	v_mul_f64_e32 v[79:80], v[45:46], v[6:7]
	s_wait_loadcnt 0x5
	v_mul_f64_e32 v[81:82], v[51:52], v[10:11]
	v_mul_f64_e32 v[83:84], v[49:50], v[10:11]
	s_wait_loadcnt 0x4
	v_mul_f64_e32 v[85:86], v[55:56], v[22:23]
	v_mul_f64_e32 v[87:88], v[53:54], v[22:23]
	s_wait_loadcnt 0x2
	v_mul_f64_e32 v[89:90], v[59:60], v[26:27]
	v_mul_f64_e32 v[91:92], v[57:58], v[26:27]
	s_wait_loadcnt 0x0
	v_mul_f64_e32 v[93:94], v[63:64], v[30:31]
	v_mul_f64_e32 v[95:96], v[61:62], v[30:31]
	v_fma_f64 v[33:34], v[33:34], v[12:13], v[65:66]
	v_fma_f64 v[35:36], v[35:36], v[12:13], -v[67:68]
	v_fma_f64 v[37:38], v[37:38], v[16:17], v[69:70]
	v_fma_f64 v[39:40], v[39:40], v[16:17], -v[71:72]
	;; [unrolled: 2-line block ×8, first 2 shown]
	ds_store_b128 v154, v[33:36]
	ds_store_b128 v154, v[49:52] offset:2304
	ds_store_b128 v154, v[37:40] offset:4608
	;; [unrolled: 1-line block ×7, first 2 shown]
	global_wb scope:SCOPE_SE
	s_wait_dscnt 0x0
	s_wait_kmcnt 0x0
	s_barrier_signal -1
	s_barrier_wait -1
	global_inv scope:SCOPE_SE
	ds_load_b128 v[33:36], v154 offset:9216
	ds_load_b128 v[37:40], v154
	ds_load_b128 v[41:44], v154 offset:4608
	ds_load_b128 v[45:48], v154 offset:13824
	;; [unrolled: 1-line block ×6, first 2 shown]
	global_wb scope:SCOPE_SE
	s_wait_dscnt 0x0
	s_barrier_signal -1
	s_barrier_wait -1
	global_inv scope:SCOPE_SE
	v_add_f64_e64 v[65:66], v[37:38], -v[33:34]
	v_add_f64_e64 v[67:68], v[39:40], -v[35:36]
	;; [unrolled: 1-line block ×8, first 2 shown]
	v_fma_f64 v[37:38], v[37:38], 2.0, -v[65:66]
	v_fma_f64 v[62:63], v[39:40], 2.0, -v[67:68]
	;; [unrolled: 1-line block ×8, first 2 shown]
	v_add_f64_e64 v[52:53], v[69:70], -v[45:46]
	v_add_f64_e64 v[33:34], v[65:66], -v[33:34]
	v_add_f64_e32 v[35:36], v[67:68], v[35:36]
	v_add_f64_e32 v[54:55], v[71:72], v[54:55]
	v_add_f64_e64 v[44:45], v[37:38], -v[39:40]
	v_add_f64_e64 v[46:47], v[62:63], -v[41:42]
	;; [unrolled: 1-line block ×4, first 2 shown]
	v_fma_f64 v[56:57], v[69:70], 2.0, -v[52:53]
	v_fma_f64 v[48:49], v[65:66], 2.0, -v[33:34]
	;; [unrolled: 1-line block ×6, first 2 shown]
	v_lshlrev_b16 v37, 2, v32
	v_fma_f64 v[64:65], v[73:74], 2.0, -v[40:41]
	v_fma_f64 v[66:67], v[75:76], 2.0, -v[42:43]
	v_add_co_u32 v76, s12, 0x90, v153
	s_delay_alu instid0(VALU_DEP_4) | instskip(SKIP_2) | instid1(VALU_DEP_3)
	v_and_b32_e32 v37, 0xffff, v37
	s_wait_alu 0xf1ff
	v_add_co_ci_u32_e64 v38, null, 0, 0, s12
	v_lshlrev_b32_e32 v131, 6, v76
                                        ; implicit-def: $vgpr72_vgpr73
	s_delay_alu instid0(VALU_DEP_3)
	v_lshlrev_b32_e32 v130, 4, v37
	ds_store_b128 v130, v[44:47] offset:32
	ds_store_b128 v130, v[33:36] offset:48
	;; [unrolled: 1-line block ×4, first 2 shown]
	ds_store_b128 v130, v[60:63]
	ds_store_b128 v130, v[48:51] offset:16
	ds_store_b128 v131, v[64:67]
	ds_store_b128 v131, v[56:59] offset:16
	global_wb scope:SCOPE_SE
	s_wait_dscnt 0x0
	s_barrier_signal -1
	s_barrier_wait -1
	global_inv scope:SCOPE_SE
	ds_load_b128 v[48:51], v154
	ds_load_b128 v[44:47], v154 offset:2304
	ds_load_b128 v[64:67], v154 offset:6144
	;; [unrolled: 1-line block ×5, first 2 shown]
	s_and_saveexec_b32 s0, vcc_lo
	s_cbranch_execz .LBB0_3
; %bb.2:
	ds_load_b128 v[40:43], v154 offset:4608
	ds_load_b128 v[52:55], v154 offset:10752
	;; [unrolled: 1-line block ×3, first 2 shown]
.LBB0_3:
	s_wait_alu 0xfffe
	s_or_b32 exec_lo, exec_lo, s0
	v_and_b32_e32 v155, 3, v153
	s_mov_b32 s0, 0xe8584caa
	s_mov_b32 s1, 0x3febb67a
	;; [unrolled: 1-line block ×3, first 2 shown]
	s_wait_alu 0xfffe
	s_mov_b32 s12, s0
	v_lshlrev_b32_e32 v32, 5, v155
	s_clause 0x1
	global_load_b128 v[36:39], v32, s[10:11]
	global_load_b128 v[32:35], v32, s[10:11] offset:16
	global_wb scope:SCOPE_SE
	s_wait_loadcnt_dscnt 0x0
	s_barrier_signal -1
	s_barrier_wait -1
	global_inv scope:SCOPE_SE
	v_mul_f64_e32 v[77:78], v[66:67], v[38:39]
	v_mul_f64_e32 v[79:80], v[64:65], v[38:39]
	;; [unrolled: 1-line block ×12, first 2 shown]
	v_fma_f64 v[64:65], v[64:65], v[36:37], -v[77:78]
	v_fma_f64 v[66:67], v[66:67], v[36:37], v[79:80]
	v_fma_f64 v[68:69], v[68:69], v[32:33], -v[81:82]
	v_fma_f64 v[70:71], v[70:71], v[32:33], v[83:84]
	v_fma_f64 v[77:78], v[56:57], v[36:37], -v[85:86]
	v_fma_f64 v[79:80], v[58:59], v[36:37], v[87:88]
	v_fma_f64 v[81:82], v[60:61], v[32:33], -v[89:90]
	v_fma_f64 v[83:84], v[62:63], v[32:33], v[91:92]
	v_fma_f64 v[56:57], v[52:53], v[36:37], -v[93:94]
	v_fma_f64 v[58:59], v[54:55], v[36:37], v[95:96]
	v_fma_f64 v[52:53], v[72:73], v[32:33], -v[97:98]
	v_fma_f64 v[54:55], v[74:75], v[32:33], v[99:100]
	v_add_f64_e32 v[89:90], v[48:49], v[64:65]
	v_add_f64_e32 v[60:61], v[64:65], v[68:69]
	;; [unrolled: 1-line block ×3, first 2 shown]
	v_add_f64_e64 v[91:92], v[66:67], -v[70:71]
	v_add_f64_e32 v[66:67], v[50:51], v[66:67]
	v_add_f64_e32 v[72:73], v[77:78], v[81:82]
	;; [unrolled: 1-line block ×3, first 2 shown]
	v_add_f64_e64 v[93:94], v[64:65], -v[68:69]
	v_add_f64_e32 v[64:65], v[44:45], v[77:78]
	v_add_f64_e32 v[85:86], v[56:57], v[52:53]
	;; [unrolled: 1-line block ×4, first 2 shown]
	v_add_f64_e64 v[99:100], v[79:80], -v[83:84]
	v_add_f64_e64 v[101:102], v[77:78], -v[81:82]
	v_fma_f64 v[97:98], v[60:61], -0.5, v[48:49]
	v_fma_f64 v[79:80], v[62:63], -0.5, v[50:51]
	v_add_f64_e64 v[48:49], v[58:59], -v[54:55]
	v_add_f64_e64 v[50:51], v[56:57], -v[52:53]
	v_fma_f64 v[103:104], v[72:73], -0.5, v[44:45]
	v_fma_f64 v[73:74], v[74:75], -0.5, v[46:47]
	v_add_f64_e32 v[60:61], v[89:90], v[68:69]
	v_add_f64_e32 v[62:63], v[66:67], v[70:71]
	v_fma_f64 v[44:45], v[85:86], -0.5, v[40:41]
	v_fma_f64 v[46:47], v[87:88], -0.5, v[42:43]
	v_add_f64_e32 v[66:67], v[95:96], v[83:84]
	v_add_f64_e32 v[64:65], v[64:65], v[81:82]
	v_lshrrev_b32_e32 v68, 2, v153
	v_fma_f64 v[69:70], v[91:92], s[0:1], v[97:98]
	s_wait_alu 0xfffe
	v_fma_f64 v[77:78], v[91:92], s[12:13], v[97:98]
	v_fma_f64 v[71:72], v[93:94], s[12:13], v[79:80]
	;; [unrolled: 1-line block ×9, first 2 shown]
	v_lshrrev_b32_e32 v73, 2, v76
	v_mul_u32_u24_e32 v74, 12, v68
	v_add_co_u32 v68, null, 0x120, v153
	s_delay_alu instid0(VALU_DEP_3) | instskip(NEXT) | instid1(VALU_DEP_3)
	v_mul_u32_u24_e32 v73, 12, v73
	v_or_b32_e32 v74, v74, v155
	s_delay_alu instid0(VALU_DEP_3) | instskip(NEXT) | instid1(VALU_DEP_3)
	v_lshrrev_b32_e32 v156, 2, v68
	v_or_b32_e32 v73, v73, v155
	s_delay_alu instid0(VALU_DEP_3) | instskip(NEXT) | instid1(VALU_DEP_2)
	v_lshlrev_b32_e32 v158, 4, v74
	v_lshlrev_b32_e32 v157, 4, v73
	ds_store_b128 v158, v[60:63]
	ds_store_b128 v158, v[69:72] offset:64
	ds_store_b128 v158, v[77:80] offset:128
	ds_store_b128 v157, v[64:67]
	ds_store_b128 v157, v[81:84] offset:64
	ds_store_b128 v157, v[85:88] offset:128
	s_and_saveexec_b32 s12, vcc_lo
	s_cbranch_execz .LBB0_5
; %bb.4:
	v_mul_f64_e32 v[50:51], s[0:1], v[50:51]
	v_add_f64_e32 v[58:59], v[42:43], v[58:59]
	v_add_f64_e32 v[40:41], v[40:41], v[56:57]
	v_mul_f64_e32 v[56:57], s[0:1], v[48:49]
	s_delay_alu instid0(VALU_DEP_4) | instskip(NEXT) | instid1(VALU_DEP_4)
	v_add_f64_e64 v[42:43], v[46:47], -v[50:51]
	v_add_f64_e32 v[48:49], v[58:59], v[54:55]
	s_delay_alu instid0(VALU_DEP_4) | instskip(NEXT) | instid1(VALU_DEP_4)
	v_add_f64_e32 v[46:47], v[40:41], v[52:53]
	v_add_f64_e32 v[40:41], v[56:57], v[44:45]
	v_mul_u32_u24_e32 v44, 12, v156
	s_delay_alu instid0(VALU_DEP_1) | instskip(NEXT) | instid1(VALU_DEP_1)
	v_or_b32_e32 v44, v44, v155
	v_lshlrev_b32_e32 v44, 4, v44
	ds_store_b128 v44, v[46:49]
	ds_store_b128 v44, v[40:43] offset:64
	ds_store_b128 v44, v[92:95] offset:128
.LBB0_5:
	s_wait_alu 0xfffe
	s_or_b32 exec_lo, exec_lo, s12
	v_and_b32_e32 v40, 0xff, v153
	global_wb scope:SCOPE_SE
	s_wait_dscnt 0x0
	s_barrier_signal -1
	s_barrier_wait -1
	global_inv scope:SCOPE_SE
	v_mul_lo_u16 v40, 0xab, v40
	s_mov_b32 s0, 0x667f3bcd
	s_mov_b32 s1, 0xbfe6a09e
	;; [unrolled: 1-line block ×3, first 2 shown]
	s_wait_alu 0xfffe
	s_mov_b32 s12, s0
	v_lshrrev_b16 v75, 11, v40
	s_delay_alu instid0(VALU_DEP_1) | instskip(NEXT) | instid1(VALU_DEP_1)
	v_mul_lo_u16 v40, v75, 12
	v_sub_nc_u16 v40, v153, v40
	s_delay_alu instid0(VALU_DEP_1) | instskip(NEXT) | instid1(VALU_DEP_1)
	v_and_b32_e32 v91, 0xff, v40
	v_mad_co_u64_u32 v[56:57], null, 0x70, v91, s[10:11]
	s_clause 0x6
	global_load_b128 v[48:51], v[56:57], off offset:128
	global_load_b128 v[44:47], v[56:57], off offset:144
	;; [unrolled: 1-line block ×7, first 2 shown]
	ds_load_b128 v[69:72], v154 offset:2304
	ds_load_b128 v[77:80], v154 offset:4608
	;; [unrolled: 1-line block ×7, first 2 shown]
	s_wait_loadcnt_dscnt 0x606
	v_mul_f64_e32 v[73:74], v[71:72], v[50:51]
	v_mul_f64_e32 v[89:90], v[69:70], v[50:51]
	s_wait_loadcnt_dscnt 0x505
	v_mul_f64_e32 v[108:109], v[79:80], v[46:47]
	v_mul_f64_e32 v[110:111], v[77:78], v[46:47]
	;; [unrolled: 3-line block ×7, first 2 shown]
	v_fma_f64 v[73:74], v[69:70], v[48:49], -v[73:74]
	v_fma_f64 v[89:90], v[71:72], v[48:49], v[89:90]
	v_fma_f64 v[77:78], v[77:78], v[44:45], -v[108:109]
	v_fma_f64 v[79:80], v[79:80], v[44:45], v[110:111]
	;; [unrolled: 2-line block ×7, first 2 shown]
	ds_load_b128 v[69:72], v154
	global_wb scope:SCOPE_SE
	s_wait_dscnt 0x0
	s_barrier_signal -1
	s_barrier_wait -1
	global_inv scope:SCOPE_SE
	v_add_f64_e64 v[81:82], v[69:70], -v[81:82]
	v_add_f64_e64 v[83:84], v[71:72], -v[83:84]
	;; [unrolled: 1-line block ×8, first 2 shown]
	v_fma_f64 v[69:70], v[69:70], 2.0, -v[81:82]
	v_fma_f64 v[71:72], v[71:72], 2.0, -v[83:84]
	;; [unrolled: 1-line block ×6, first 2 shown]
	v_add_f64_e32 v[112:113], v[83:84], v[85:86]
	v_add_f64_e64 v[87:88], v[81:82], -v[87:88]
	v_fma_f64 v[85:86], v[100:101], 2.0, -v[104:105]
	v_fma_f64 v[100:101], v[102:103], 2.0, -v[106:107]
	v_add_f64_e64 v[102:103], v[96:97], -v[106:107]
	v_add_f64_e32 v[104:105], v[98:99], v[104:105]
	v_add_f64_e64 v[106:107], v[69:70], -v[77:78]
	v_add_f64_e64 v[114:115], v[71:72], -v[79:80]
	v_fma_f64 v[118:119], v[83:84], 2.0, -v[112:113]
	v_fma_f64 v[116:117], v[81:82], 2.0, -v[87:88]
	v_add_f64_e64 v[77:78], v[73:74], -v[85:86]
	v_add_f64_e64 v[79:80], v[89:90], -v[100:101]
	v_fma_f64 v[81:82], v[96:97], 2.0, -v[102:103]
	v_fma_f64 v[83:84], v[98:99], 2.0, -v[104:105]
	s_wait_alu 0xfffe
	v_fma_f64 v[85:86], v[102:103], s[12:13], v[87:88]
	v_fma_f64 v[100:101], v[104:105], s[12:13], v[112:113]
	v_fma_f64 v[120:121], v[69:70], 2.0, -v[106:107]
	v_fma_f64 v[122:123], v[71:72], 2.0, -v[114:115]
	;; [unrolled: 1-line block ×4, first 2 shown]
	v_fma_f64 v[73:74], v[81:82], s[0:1], v[116:117]
	v_fma_f64 v[89:90], v[83:84], s[0:1], v[118:119]
	v_add_f64_e64 v[96:97], v[106:107], -v[79:80]
	v_add_f64_e32 v[98:99], v[114:115], v[77:78]
	v_fma_f64 v[108:109], v[104:105], s[0:1], v[85:86]
	v_fma_f64 v[110:111], v[102:103], s[12:13], v[100:101]
	v_add_f64_e64 v[69:70], v[120:121], -v[69:70]
	v_add_f64_e64 v[71:72], v[122:123], -v[71:72]
	v_fma_f64 v[77:78], v[83:84], s[0:1], v[73:74]
	v_fma_f64 v[79:80], v[81:82], s[12:13], v[89:90]
	v_fma_f64 v[81:82], v[106:107], 2.0, -v[96:97]
	v_fma_f64 v[83:84], v[114:115], 2.0, -v[98:99]
	;; [unrolled: 1-line block ×4, first 2 shown]
	v_and_b32_e32 v73, 0xffff, v75
	v_add_co_u32 v128, s0, s8, v154
	s_wait_alu 0xf1ff
	v_add_co_ci_u32_e64 v129, null, s9, 0, s0
	s_delay_alu instid0(VALU_DEP_3) | instskip(NEXT) | instid1(VALU_DEP_1)
	v_mul_u32_u24_e32 v73, 0x60, v73
	v_or_b32_e32 v73, v73, v91
	s_delay_alu instid0(VALU_DEP_1)
	v_lshlrev_b32_e32 v159, 4, v73
	v_fma_f64 v[100:101], v[120:121], 2.0, -v[69:70]
	v_fma_f64 v[102:103], v[122:123], 2.0, -v[71:72]
	;; [unrolled: 1-line block ×4, first 2 shown]
	ds_store_b128 v159, v[96:99] offset:1152
	ds_store_b128 v159, v[108:111] offset:1344
	;; [unrolled: 1-line block ×6, first 2 shown]
	ds_store_b128 v159, v[100:103]
	ds_store_b128 v159, v[104:107] offset:192
	global_wb scope:SCOPE_SE
	s_wait_dscnt 0x0
	s_barrier_signal -1
	s_barrier_wait -1
	global_inv scope:SCOPE_SE
	ds_load_b128 v[104:107], v154
	ds_load_b128 v[100:103], v154 offset:2304
	ds_load_b128 v[120:123], v154 offset:6144
	;; [unrolled: 1-line block ×5, first 2 shown]
	s_and_saveexec_b32 s0, vcc_lo
	s_cbranch_execz .LBB0_7
; %bb.6:
	ds_load_b128 v[96:99], v154 offset:4608
	ds_load_b128 v[108:111], v154 offset:10752
	;; [unrolled: 1-line block ×3, first 2 shown]
.LBB0_7:
	s_wait_alu 0xfffe
	s_or_b32 exec_lo, exec_lo, s0
	v_add_co_u32 v71, s0, 0xffffffa0, v153
	v_and_b32_e32 v69, 0xffff, v76
	v_and_b32_e32 v70, 0xffff, v68
	s_wait_alu 0xf1ff
	v_add_co_ci_u32_e64 v72, null, 0, -1, s0
	v_cndmask_b32_e32 v144, v71, v153, vcc_lo
	v_mul_u32_u24_e32 v69, 0xaaab, v69
	v_mul_u32_u24_e32 v70, 0xaaab, v70
	s_delay_alu instid0(VALU_DEP_4)
	v_cndmask_b32_e64 v145, v72, 0, vcc_lo
	s_mov_b32 s12, 0xe8584caa
	s_mov_b32 s13, 0x3febb67a
	v_lshrrev_b32_e32 v151, 22, v69
	v_lshrrev_b32_e32 v69, 22, v70
	s_mov_b32 s1, 0xbfebb67a
	s_delay_alu instid0(VALU_DEP_2) | instskip(NEXT) | instid1(VALU_DEP_2)
	v_mul_lo_u16 v70, 0x60, v151
	v_mul_lo_u16 v71, 0x60, v69
	s_delay_alu instid0(VALU_DEP_2) | instskip(SKIP_1) | instid1(VALU_DEP_3)
	v_sub_nc_u16 v170, v76, v70
	v_lshlrev_b64_e32 v[69:70], 5, v[144:145]
	v_sub_nc_u16 v171, v68, v71
	s_delay_alu instid0(VALU_DEP_3) | instskip(NEXT) | instid1(VALU_DEP_3)
	v_lshlrev_b16 v71, 5, v170
	v_add_co_u32 v68, s0, s10, v69
	s_wait_alu 0xf1ff
	s_delay_alu instid0(VALU_DEP_4)
	v_add_co_ci_u32_e64 v69, s0, s11, v70, s0
	v_lshlrev_b16 v70, 5, v171
	v_and_b32_e32 v71, 0xffff, v71
	s_clause 0x1
	global_load_b128 v[76:79], v[68:69], off offset:1488
	global_load_b128 v[80:83], v[68:69], off offset:1472
	v_and_b32_e32 v70, 0xffff, v70
	v_add_co_u32 v68, s0, s10, v71
	s_wait_alu 0xf1ff
	v_add_co_ci_u32_e64 v69, null, s11, 0, s0
	s_delay_alu instid0(VALU_DEP_3)
	v_add_co_u32 v70, s0, s10, v70
	s_wait_alu 0xf1ff
	v_add_co_ci_u32_e64 v71, null, s11, 0, s0
	s_clause 0x3
	global_load_b128 v[88:91], v[68:69], off offset:1472
	global_load_b128 v[84:87], v[68:69], off offset:1488
	;; [unrolled: 1-line block ×4, first 2 shown]
	s_wait_alu 0xfffe
	s_mov_b32 s0, s12
	global_wb scope:SCOPE_SE
	s_wait_loadcnt_dscnt 0x0
	s_barrier_signal -1
	s_barrier_wait -1
	global_inv scope:SCOPE_SE
	v_mul_f64_e32 v[136:137], v[126:127], v[78:79]
	v_mul_f64_e32 v[132:133], v[122:123], v[82:83]
	;; [unrolled: 1-line block ×12, first 2 shown]
	v_fma_f64 v[124:125], v[124:125], v[76:77], -v[136:137]
	v_fma_f64 v[120:121], v[120:121], v[80:81], -v[132:133]
	v_fma_f64 v[122:123], v[122:123], v[80:81], v[134:135]
	v_fma_f64 v[126:127], v[126:127], v[76:77], v[138:139]
	v_fma_f64 v[112:113], v[112:113], v[88:89], -v[140:141]
	v_fma_f64 v[114:115], v[114:115], v[88:89], v[142:143]
	v_fma_f64 v[116:117], v[116:117], v[84:85], -v[145:146]
	;; [unrolled: 2-line block ×4, first 2 shown]
	v_fma_f64 v[94:95], v[94:95], v[68:69], v[164:165]
	v_add_f64_e32 v[132:133], v[120:121], v[124:125]
	v_add_f64_e32 v[145:146], v[104:105], v[120:121]
	;; [unrolled: 1-line block ×3, first 2 shown]
	v_add_f64_e64 v[147:148], v[122:123], -v[126:127]
	v_add_f64_e32 v[122:123], v[106:107], v[122:123]
	v_add_f64_e64 v[149:150], v[120:121], -v[124:125]
	v_add_f64_e32 v[120:121], v[100:101], v[112:113]
	v_add_f64_e32 v[160:161], v[102:103], v[114:115]
	v_add_f64_e32 v[136:137], v[112:113], v[116:117]
	v_add_f64_e32 v[138:139], v[114:115], v[118:119]
	v_add_f64_e64 v[162:163], v[114:115], -v[118:119]
	v_add_f64_e64 v[164:165], v[112:113], -v[116:117]
	v_add_f64_e32 v[140:141], v[108:109], v[92:93]
	v_add_f64_e32 v[142:143], v[110:111], v[94:95]
	v_fma_f64 v[132:133], v[132:133], -0.5, v[104:105]
	v_add_f64_e64 v[104:105], v[110:111], -v[94:95]
	v_fma_f64 v[134:135], v[134:135], -0.5, v[106:107]
	v_add_f64_e64 v[106:107], v[108:109], -v[92:93]
	v_add_f64_e32 v[112:113], v[145:146], v[124:125]
	v_add_f64_e32 v[114:115], v[122:123], v[126:127]
	v_mad_u16 v145, 0x120, v151, v170
	v_add_f64_e32 v[120:121], v[120:121], v[116:117]
	v_add_f64_e32 v[122:123], v[160:161], v[118:119]
	v_fma_f64 v[166:167], v[136:137], -0.5, v[100:101]
	v_fma_f64 v[168:169], v[138:139], -0.5, v[102:103]
	v_and_b32_e32 v145, 0xffff, v145
	v_and_b32_e32 v160, 0xffff, v171
	v_fma_f64 v[100:101], v[140:141], -0.5, v[96:97]
	v_fma_f64 v[102:103], v[142:143], -0.5, v[98:99]
	v_fma_f64 v[124:125], v[147:148], s[12:13], v[132:133]
	s_wait_alu 0xfffe
	v_fma_f64 v[132:133], v[147:148], s[0:1], v[132:133]
	v_fma_f64 v[126:127], v[149:150], s[0:1], v[134:135]
	;; [unrolled: 1-line block ×9, first 2 shown]
	v_cmp_lt_u16_e64 s0, 0x5f, v153
	v_lshlrev_b32_e32 v162, 4, v145
	s_wait_alu 0xf1ff
	s_delay_alu instid0(VALU_DEP_2) | instskip(NEXT) | instid1(VALU_DEP_1)
	v_cndmask_b32_e64 v146, 0, 0x120, s0
	v_add_lshl_u32 v161, v144, v146, 4
	ds_store_b128 v161, v[112:115]
	ds_store_b128 v161, v[124:127] offset:1536
	ds_store_b128 v161, v[132:135] offset:3072
	ds_store_b128 v162, v[120:123]
	ds_store_b128 v162, v[136:139] offset:1536
	ds_store_b128 v162, v[140:143] offset:3072
	s_and_saveexec_b32 s0, vcc_lo
	s_cbranch_execz .LBB0_9
; %bb.8:
	v_mul_f64_e32 v[106:107], s[12:13], v[106:107]
	v_add_f64_e32 v[98:99], v[98:99], v[110:111]
	v_add_f64_e32 v[108:109], v[96:97], v[108:109]
	v_mul_f64_e32 v[110:111], s[12:13], v[104:105]
	s_delay_alu instid0(VALU_DEP_4) | instskip(NEXT) | instid1(VALU_DEP_4)
	v_add_f64_e64 v[96:97], v[102:103], -v[106:107]
	v_add_f64_e32 v[104:105], v[98:99], v[94:95]
	s_delay_alu instid0(VALU_DEP_4) | instskip(NEXT) | instid1(VALU_DEP_4)
	v_add_f64_e32 v[102:103], v[108:109], v[92:93]
	v_add_f64_e32 v[94:95], v[110:111], v[100:101]
	v_lshlrev_b32_e32 v92, 4, v160
	ds_store_b128 v92, v[102:105] offset:13824
	ds_store_b128 v92, v[94:97] offset:15360
	;; [unrolled: 1-line block ×3, first 2 shown]
.LBB0_9:
	s_wait_alu 0xfffe
	s_or_b32 exec_lo, exec_lo, s0
	v_mad_co_u64_u32 v[104:105], null, v153, 48, s[10:11]
	global_wb scope:SCOPE_SE
	s_wait_dscnt 0x0
	s_barrier_signal -1
	s_barrier_wait -1
	global_inv scope:SCOPE_SE
	s_add_nc_u64 s[0:1], s[8:9], 0x4800
	s_clause 0x5
	global_load_b128 v[100:103], v[104:105], off offset:4544
	global_load_b128 v[96:99], v[104:105], off offset:4560
	;; [unrolled: 1-line block ×6, first 2 shown]
	ds_load_b128 v[120:123], v154 offset:4608
	ds_load_b128 v[124:127], v154 offset:9216
	ds_load_b128 v[132:135], v154 offset:13824
	ds_load_b128 v[136:139], v154 offset:6912
	ds_load_b128 v[140:143], v154 offset:11520
	ds_load_b128 v[144:147], v154 offset:16128
	s_wait_loadcnt_dscnt 0x505
	v_mul_f64_e32 v[148:149], v[122:123], v[102:103]
	v_mul_f64_e32 v[150:151], v[120:121], v[102:103]
	s_wait_loadcnt_dscnt 0x404
	v_mul_f64_e32 v[163:164], v[126:127], v[98:99]
	v_mul_f64_e32 v[165:166], v[124:125], v[98:99]
	;; [unrolled: 3-line block ×6, first 2 shown]
	v_fma_f64 v[148:149], v[120:121], v[100:101], -v[148:149]
	v_fma_f64 v[150:151], v[122:123], v[100:101], v[150:151]
	v_fma_f64 v[163:164], v[124:125], v[96:97], -v[163:164]
	v_fma_f64 v[165:166], v[126:127], v[96:97], v[165:166]
	;; [unrolled: 2-line block ×6, first 2 shown]
	ds_load_b128 v[120:123], v154
	ds_load_b128 v[124:127], v154 offset:2304
	s_wait_dscnt 0x1
	v_add_f64_e64 v[163:164], v[120:121], -v[163:164]
	v_add_f64_e64 v[165:166], v[122:123], -v[165:166]
	;; [unrolled: 1-line block ×4, first 2 shown]
	s_wait_dscnt 0x0
	v_add_f64_e64 v[167:168], v[124:125], -v[140:141]
	v_add_f64_e64 v[169:170], v[126:127], -v[142:143]
	;; [unrolled: 1-line block ×4, first 2 shown]
	v_fma_f64 v[171:172], v[120:121], 2.0, -v[163:164]
	v_fma_f64 v[173:174], v[122:123], 2.0, -v[165:166]
	;; [unrolled: 1-line block ×4, first 2 shown]
	v_add_f64_e64 v[120:121], v[163:164], -v[134:135]
	v_add_f64_e32 v[122:123], v[165:166], v[132:133]
	v_fma_f64 v[175:176], v[124:125], 2.0, -v[167:168]
	v_fma_f64 v[177:178], v[126:127], 2.0, -v[169:170]
	;; [unrolled: 1-line block ×4, first 2 shown]
	v_add_f64_e64 v[124:125], v[167:168], -v[142:143]
	v_add_f64_e32 v[126:127], v[169:170], v[140:141]
	v_add_f64_e64 v[132:133], v[171:172], -v[144:145]
	v_add_f64_e64 v[134:135], v[173:174], -v[146:147]
	v_fma_f64 v[140:141], v[163:164], 2.0, -v[120:121]
	v_fma_f64 v[142:143], v[165:166], 2.0, -v[122:123]
	v_add_f64_e64 v[136:137], v[175:176], -v[136:137]
	v_add_f64_e64 v[138:139], v[177:178], -v[138:139]
	v_fma_f64 v[144:145], v[167:168], 2.0, -v[124:125]
	v_fma_f64 v[146:147], v[169:170], 2.0, -v[126:127]
	v_lshlrev_b32_e32 v167, 4, v153
	v_fma_f64 v[148:149], v[171:172], 2.0, -v[132:133]
	v_fma_f64 v[150:151], v[173:174], 2.0, -v[134:135]
	;; [unrolled: 1-line block ×4, first 2 shown]
	ds_store_b128 v154, v[120:123] offset:13824
	ds_store_b128 v154, v[124:127] offset:16128
	;; [unrolled: 1-line block ×6, first 2 shown]
	ds_store_b128 v154, v[148:151]
	ds_store_b128 v154, v[163:166] offset:2304
	global_wb scope:SCOPE_SE
	s_wait_dscnt 0x0
	s_barrier_signal -1
	s_barrier_wait -1
	global_inv scope:SCOPE_SE
	s_clause 0x7
	global_load_b128 v[120:123], v[128:129], off offset:18432
	global_load_b128 v[124:127], v167, s[0:1] offset:4608
	global_load_b128 v[132:135], v167, s[0:1] offset:9216
	global_load_b128 v[136:139], v167, s[0:1] offset:13824
	global_load_b128 v[140:143], v167, s[0:1] offset:2304
	global_load_b128 v[144:147], v167, s[0:1] offset:6912
	global_load_b128 v[148:151], v167, s[0:1] offset:11520
	global_load_b128 v[163:166], v167, s[0:1] offset:16128
	ds_load_b128 v[167:170], v154
	ds_load_b128 v[171:174], v154 offset:4608
	ds_load_b128 v[175:178], v154 offset:9216
	;; [unrolled: 1-line block ×7, first 2 shown]
	s_wait_loadcnt_dscnt 0x707
	v_mul_f64_e32 v[128:129], v[169:170], v[122:123]
	v_mul_f64_e32 v[122:123], v[167:168], v[122:123]
	s_wait_loadcnt_dscnt 0x505
	v_mul_f64_e32 v[203:204], v[177:178], v[134:135]
	v_mul_f64_e32 v[134:135], v[175:176], v[134:135]
	;; [unrolled: 3-line block ×4, first 2 shown]
	v_mul_f64_e32 v[199:200], v[173:174], v[126:127]
	v_mul_f64_e32 v[201:202], v[171:172], v[126:127]
	s_wait_loadcnt_dscnt 0x202
	v_mul_f64_e32 v[209:210], v[189:190], v[146:147]
	v_mul_f64_e32 v[146:147], v[187:188], v[146:147]
	s_wait_loadcnt_dscnt 0x101
	;; [unrolled: 3-line block ×3, first 2 shown]
	v_mul_f64_e32 v[213:214], v[197:198], v[165:166]
	v_mul_f64_e32 v[215:216], v[195:196], v[165:166]
	v_fma_f64 v[126:127], v[167:168], v[120:121], -v[128:129]
	v_fma_f64 v[128:129], v[169:170], v[120:121], v[122:123]
	v_fma_f64 v[165:166], v[175:176], v[132:133], -v[203:204]
	v_fma_f64 v[167:168], v[177:178], v[132:133], v[134:135]
	;; [unrolled: 2-line block ×8, first 2 shown]
	ds_store_b128 v154, v[126:129]
	ds_store_b128 v154, v[136:139] offset:2304
	ds_store_b128 v154, v[120:123] offset:4608
	;; [unrolled: 1-line block ×7, first 2 shown]
	global_wb scope:SCOPE_SE
	s_wait_dscnt 0x0
	s_barrier_signal -1
	s_barrier_wait -1
	global_inv scope:SCOPE_SE
	ds_load_b128 v[120:123], v154 offset:9216
	ds_load_b128 v[124:127], v154
	ds_load_b128 v[132:135], v154 offset:4608
	ds_load_b128 v[136:139], v154 offset:13824
	;; [unrolled: 1-line block ×6, first 2 shown]
	global_wb scope:SCOPE_SE
	s_wait_dscnt 0x0
	s_barrier_signal -1
	s_barrier_wait -1
	global_inv scope:SCOPE_SE
	v_add_f64_e64 v[128:129], v[124:125], -v[120:121]
	v_add_f64_e64 v[167:168], v[126:127], -v[122:123]
	v_add_f64_e64 v[120:121], v[132:133], -v[136:137]
	v_add_f64_e64 v[122:123], v[134:135], -v[138:139]
	v_add_f64_e64 v[144:145], v[140:141], -v[144:145]
	v_add_f64_e64 v[146:147], v[142:143], -v[146:147]
	v_add_f64_e64 v[163:164], v[148:149], -v[163:164]
	v_add_f64_e64 v[136:137], v[150:151], -v[165:166]
	v_fma_f64 v[165:166], v[124:125], 2.0, -v[128:129]
	v_fma_f64 v[169:170], v[126:127], 2.0, -v[167:168]
	;; [unrolled: 1-line block ×8, first 2 shown]
	v_add_f64_e32 v[132:133], v[144:145], v[136:137]
	v_add_f64_e32 v[124:125], v[128:129], v[122:123]
	v_add_f64_e64 v[126:127], v[167:168], -v[120:121]
	v_add_f64_e64 v[136:137], v[165:166], -v[138:139]
	;; [unrolled: 1-line block ×6, first 2 shown]
	v_fma_f64 v[144:145], v[144:145], 2.0, -v[132:133]
	v_fma_f64 v[140:141], v[128:129], 2.0, -v[124:125]
	v_fma_f64 v[142:143], v[167:168], 2.0, -v[126:127]
	v_fma_f64 v[148:149], v[165:166], 2.0, -v[136:137]
	v_fma_f64 v[150:151], v[169:170], 2.0, -v[138:139]
	v_fma_f64 v[146:147], v[146:147], 2.0, -v[134:135]
	v_fma_f64 v[163:164], v[171:172], 2.0, -v[120:121]
	v_fma_f64 v[165:166], v[173:174], 2.0, -v[122:123]
	ds_store_b128 v130, v[136:139] offset:32
	ds_store_b128 v130, v[124:127] offset:48
	;; [unrolled: 1-line block ×4, first 2 shown]
	ds_store_b128 v130, v[148:151]
	ds_store_b128 v130, v[140:143] offset:16
	ds_store_b128 v131, v[163:166]
	ds_store_b128 v131, v[144:147] offset:16
	global_wb scope:SCOPE_SE
	s_wait_dscnt 0x0
	s_barrier_signal -1
	s_barrier_wait -1
	global_inv scope:SCOPE_SE
	ds_load_b128 v[128:131], v154
	ds_load_b128 v[124:127], v154 offset:2304
	ds_load_b128 v[144:147], v154 offset:6144
	;; [unrolled: 1-line block ×5, first 2 shown]
	s_and_saveexec_b32 s0, vcc_lo
	s_cbranch_execz .LBB0_11
; %bb.10:
	ds_load_b128 v[120:123], v154 offset:4608
	ds_load_b128 v[132:135], v154 offset:10752
	;; [unrolled: 1-line block ×3, first 2 shown]
.LBB0_11:
	s_wait_alu 0xfffe
	s_or_b32 exec_lo, exec_lo, s0
	s_wait_dscnt 0x3
	v_mul_f64_e32 v[163:164], v[38:39], v[146:147]
	v_mul_f64_e32 v[165:166], v[38:39], v[144:145]
	s_wait_dscnt 0x1
	v_mul_f64_e32 v[167:168], v[34:35], v[150:151]
	v_mul_f64_e32 v[169:170], v[34:35], v[148:149]
	;; [unrolled: 1-line block ×4, first 2 shown]
	s_wait_dscnt 0x0
	v_mul_f64_e32 v[175:176], v[34:35], v[142:143]
	v_mul_f64_e32 v[177:178], v[34:35], v[140:141]
	;; [unrolled: 1-line block ×6, first 2 shown]
	s_mov_b32 s8, 0xe8584caa
	s_mov_b32 s9, 0xbfebb67a
	;; [unrolled: 1-line block ×3, first 2 shown]
	s_wait_alu 0xfffe
	s_mov_b32 s0, s8
	global_wb scope:SCOPE_SE
	s_barrier_signal -1
	s_barrier_wait -1
	global_inv scope:SCOPE_SE
	v_fma_f64 v[144:145], v[36:37], v[144:145], v[163:164]
	v_fma_f64 v[146:147], v[36:37], v[146:147], -v[165:166]
	v_fma_f64 v[148:149], v[32:33], v[148:149], v[167:168]
	v_fma_f64 v[150:151], v[32:33], v[150:151], -v[169:170]
	;; [unrolled: 2-line block ×6, first 2 shown]
	v_add_f64_e32 v[167:168], v[128:129], v[144:145]
	v_add_f64_e32 v[32:33], v[144:145], v[148:149]
	;; [unrolled: 1-line block ×3, first 2 shown]
	v_add_f64_e64 v[169:170], v[146:147], -v[150:151]
	v_add_f64_e32 v[146:147], v[130:131], v[146:147]
	v_add_f64_e32 v[118:119], v[136:137], v[140:141]
	;; [unrolled: 1-line block ×3, first 2 shown]
	v_add_f64_e64 v[171:172], v[144:145], -v[148:149]
	v_add_f64_e32 v[144:145], v[124:125], v[136:137]
	v_add_f64_e32 v[163:164], v[38:39], v[36:37]
	;; [unrolled: 1-line block ×4, first 2 shown]
	v_add_f64_e64 v[175:176], v[138:139], -v[142:143]
	v_fma_f64 v[32:33], v[32:33], -0.5, v[128:129]
	v_fma_f64 v[34:35], v[34:35], -0.5, v[130:131]
	v_add_f64_e64 v[128:129], v[38:39], -v[36:37]
	v_add_f64_e64 v[130:131], v[136:137], -v[140:141]
	v_fma_f64 v[177:178], v[118:119], -0.5, v[124:125]
	v_add_f64_e64 v[124:125], v[132:133], -v[116:117]
	v_fma_f64 v[179:180], v[134:135], -0.5, v[126:127]
	v_add_f64_e32 v[134:135], v[167:168], v[148:149]
	v_fma_f64 v[118:119], v[163:164], -0.5, v[120:121]
	v_fma_f64 v[126:127], v[165:166], -0.5, v[122:123]
	v_add_f64_e32 v[136:137], v[146:147], v[150:151]
	v_add_f64_e32 v[138:139], v[144:145], v[140:141]
	;; [unrolled: 1-line block ×3, first 2 shown]
	v_fma_f64 v[142:143], v[169:170], s[8:9], v[32:33]
	s_wait_alu 0xfffe
	v_fma_f64 v[146:147], v[169:170], s[0:1], v[32:33]
	v_fma_f64 v[144:145], v[171:172], s[0:1], v[34:35]
	;; [unrolled: 1-line block ×9, first 2 shown]
	ds_store_b128 v158, v[134:137]
	ds_store_b128 v158, v[142:145] offset:64
	ds_store_b128 v158, v[146:149] offset:128
	ds_store_b128 v157, v[138:141]
	ds_store_b128 v157, v[163:166] offset:64
	ds_store_b128 v157, v[167:170] offset:128
	s_and_saveexec_b32 s8, vcc_lo
	s_cbranch_execz .LBB0_13
; %bb.12:
	v_add_f64_e32 v[122:123], v[132:133], v[122:123]
	v_add_f64_e32 v[120:121], v[38:39], v[120:121]
	v_mul_f64_e32 v[128:129], s[0:1], v[128:129]
	v_mul_f64_e32 v[124:125], s[0:1], v[124:125]
	s_delay_alu instid0(VALU_DEP_4) | instskip(NEXT) | instid1(VALU_DEP_4)
	v_add_f64_e32 v[122:123], v[116:117], v[122:123]
	v_add_f64_e32 v[120:121], v[120:121], v[36:37]
	s_delay_alu instid0(VALU_DEP_4) | instskip(NEXT) | instid1(VALU_DEP_4)
	v_add_f64_e32 v[38:39], v[128:129], v[126:127]
	v_add_f64_e64 v[36:37], v[118:119], -v[124:125]
	v_mul_u32_u24_e32 v116, 12, v156
	s_delay_alu instid0(VALU_DEP_1) | instskip(NEXT) | instid1(VALU_DEP_1)
	v_or_b32_e32 v116, v116, v155
	v_lshlrev_b32_e32 v116, 4, v116
	ds_store_b128 v116, v[120:123]
	ds_store_b128 v116, v[36:39] offset:64
	ds_store_b128 v116, v[32:35] offset:128
.LBB0_13:
	s_wait_alu 0xfffe
	s_or_b32 exec_lo, exec_lo, s8
	global_wb scope:SCOPE_SE
	s_wait_dscnt 0x0
	s_barrier_signal -1
	s_barrier_wait -1
	global_inv scope:SCOPE_SE
	ds_load_b128 v[36:39], v154 offset:2304
	ds_load_b128 v[116:119], v154 offset:4608
	;; [unrolled: 1-line block ×7, first 2 shown]
	s_mov_b32 s0, 0x667f3bcd
	s_mov_b32 s1, 0xbfe6a09e
	;; [unrolled: 1-line block ×3, first 2 shown]
	s_wait_alu 0xfffe
	s_mov_b32 s8, s0
	s_wait_dscnt 0x6
	v_mul_f64_e32 v[140:141], v[50:51], v[38:39]
	v_mul_f64_e32 v[50:51], v[50:51], v[36:37]
	s_wait_dscnt 0x5
	v_mul_f64_e32 v[142:143], v[46:47], v[118:119]
	v_mul_f64_e32 v[46:47], v[46:47], v[116:117]
	;; [unrolled: 3-line block ×7, first 2 shown]
	v_fma_f64 v[140:141], v[48:49], v[36:37], v[140:141]
	v_fma_f64 v[48:49], v[48:49], v[38:39], -v[50:51]
	v_fma_f64 v[50:51], v[44:45], v[116:117], v[142:143]
	v_fma_f64 v[44:45], v[44:45], v[118:119], -v[46:47]
	;; [unrolled: 2-line block ×7, first 2 shown]
	ds_load_b128 v[36:39], v154
	global_wb scope:SCOPE_SE
	s_wait_dscnt 0x0
	s_barrier_signal -1
	s_barrier_wait -1
	global_inv scope:SCOPE_SE
	v_add_f64_e64 v[46:47], v[36:37], -v[46:47]
	v_add_f64_e64 v[40:41], v[38:39], -v[40:41]
	;; [unrolled: 1-line block ×8, first 2 shown]
	v_fma_f64 v[36:37], v[36:37], 2.0, -v[46:47]
	v_fma_f64 v[38:39], v[38:39], 2.0, -v[40:41]
	;; [unrolled: 1-line block ×6, first 2 shown]
	v_add_f64_e32 v[116:117], v[46:47], v[52:53]
	v_add_f64_e64 v[118:119], v[40:41], -v[42:43]
	v_fma_f64 v[42:43], v[66:67], 2.0, -v[62:63]
	v_fma_f64 v[52:53], v[60:61], 2.0, -v[56:57]
	v_add_f64_e32 v[56:57], v[54:55], v[56:57]
	v_add_f64_e64 v[60:61], v[58:59], -v[62:63]
	v_add_f64_e64 v[62:63], v[36:37], -v[50:51]
	;; [unrolled: 1-line block ×3, first 2 shown]
	v_fma_f64 v[120:121], v[46:47], 2.0, -v[116:117]
	v_fma_f64 v[122:123], v[40:41], 2.0, -v[118:119]
	v_add_f64_e64 v[40:41], v[64:65], -v[42:43]
	v_add_f64_e64 v[42:43], v[48:49], -v[52:53]
	v_fma_f64 v[50:51], v[54:55], 2.0, -v[56:57]
	v_fma_f64 v[52:53], v[58:59], 2.0, -v[60:61]
	s_wait_alu 0xfffe
	v_fma_f64 v[44:45], v[56:57], s[8:9], v[116:117]
	v_fma_f64 v[46:47], v[60:61], s[8:9], v[118:119]
	v_fma_f64 v[124:125], v[36:37], 2.0, -v[62:63]
	v_fma_f64 v[126:127], v[38:39], 2.0, -v[66:67]
	;; [unrolled: 1-line block ×4, first 2 shown]
	v_fma_f64 v[58:59], v[50:51], s[0:1], v[120:121]
	v_fma_f64 v[64:65], v[52:53], s[0:1], v[122:123]
	v_add_f64_e32 v[36:37], v[62:63], v[42:43]
	v_add_f64_e64 v[38:39], v[66:67], -v[40:41]
	v_fma_f64 v[40:41], v[60:61], s[8:9], v[44:45]
	v_fma_f64 v[42:43], v[56:57], s[0:1], v[46:47]
	v_add_f64_e64 v[44:45], v[124:125], -v[54:55]
	v_add_f64_e64 v[46:47], v[126:127], -v[48:49]
	v_fma_f64 v[48:49], v[52:53], s[8:9], v[58:59]
	v_fma_f64 v[50:51], v[50:51], s[0:1], v[64:65]
	v_fma_f64 v[52:53], v[62:63], 2.0, -v[36:37]
	v_fma_f64 v[54:55], v[66:67], 2.0, -v[38:39]
	;; [unrolled: 1-line block ×8, first 2 shown]
	ds_store_b128 v159, v[36:39] offset:1152
	ds_store_b128 v159, v[40:43] offset:1344
	;; [unrolled: 1-line block ×6, first 2 shown]
	ds_store_b128 v159, v[60:63]
	ds_store_b128 v159, v[64:67] offset:192
	global_wb scope:SCOPE_SE
	s_wait_dscnt 0x0
	s_barrier_signal -1
	s_barrier_wait -1
	global_inv scope:SCOPE_SE
	ds_load_b128 v[48:51], v154
	ds_load_b128 v[44:47], v154 offset:2304
	ds_load_b128 v[60:63], v154 offset:6144
	;; [unrolled: 1-line block ×5, first 2 shown]
	s_and_saveexec_b32 s0, vcc_lo
	s_cbranch_execz .LBB0_15
; %bb.14:
	ds_load_b128 v[36:39], v154 offset:4608
	ds_load_b128 v[40:43], v154 offset:10752
	;; [unrolled: 1-line block ×3, first 2 shown]
.LBB0_15:
	s_wait_alu 0xfffe
	s_or_b32 exec_lo, exec_lo, s0
	s_wait_dscnt 0x3
	v_mul_f64_e32 v[116:117], v[82:83], v[62:63]
	s_wait_dscnt 0x1
	v_mul_f64_e32 v[118:119], v[78:79], v[66:67]
	v_mul_f64_e32 v[82:83], v[82:83], v[60:61]
	;; [unrolled: 1-line block ×4, first 2 shown]
	s_wait_dscnt 0x0
	v_mul_f64_e32 v[122:123], v[86:87], v[58:59]
	v_mul_f64_e32 v[90:91], v[90:91], v[52:53]
	;; [unrolled: 1-line block ×3, first 2 shown]
	s_mov_b32 s0, 0xe8584caa
	s_mov_b32 s1, 0xbfebb67a
	;; [unrolled: 1-line block ×3, first 2 shown]
	s_wait_alu 0xfffe
	s_mov_b32 s8, s0
	global_wb scope:SCOPE_SE
	s_barrier_signal -1
	s_barrier_wait -1
	global_inv scope:SCOPE_SE
	v_fma_f64 v[60:61], v[80:81], v[60:61], v[116:117]
	v_fma_f64 v[64:65], v[76:77], v[64:65], v[118:119]
	v_fma_f64 v[62:63], v[80:81], v[62:63], -v[82:83]
	v_fma_f64 v[66:67], v[76:77], v[66:67], -v[78:79]
	v_fma_f64 v[52:53], v[88:89], v[52:53], v[120:121]
	v_fma_f64 v[56:57], v[84:85], v[56:57], v[122:123]
	v_fma_f64 v[54:55], v[88:89], v[54:55], -v[90:91]
	v_fma_f64 v[58:59], v[84:85], v[58:59], -v[86:87]
	v_add_f64_e32 v[84:85], v[48:49], v[60:61]
	v_add_f64_e32 v[76:77], v[60:61], v[64:65]
	v_add_f64_e64 v[60:61], v[60:61], -v[64:65]
	v_add_f64_e32 v[78:79], v[62:63], v[66:67]
	v_add_f64_e64 v[86:87], v[62:63], -v[66:67]
	v_add_f64_e32 v[80:81], v[52:53], v[56:57]
	v_add_f64_e32 v[62:63], v[50:51], v[62:63]
	;; [unrolled: 1-line block ×5, first 2 shown]
	v_add_f64_e64 v[116:117], v[54:55], -v[58:59]
	v_add_f64_e64 v[118:119], v[52:53], -v[56:57]
	v_fma_f64 v[76:77], v[76:77], -0.5, v[48:49]
	v_fma_f64 v[78:79], v[78:79], -0.5, v[50:51]
	;; [unrolled: 1-line block ×3, first 2 shown]
	v_add_f64_e32 v[44:45], v[84:85], v[64:65]
	v_fma_f64 v[82:83], v[82:83], -0.5, v[46:47]
	v_add_f64_e32 v[46:47], v[62:63], v[66:67]
	v_add_f64_e32 v[48:49], v[88:89], v[56:57]
	;; [unrolled: 1-line block ×3, first 2 shown]
	v_fma_f64 v[52:53], v[86:87], s[0:1], v[76:77]
	s_wait_alu 0xfffe
	v_fma_f64 v[56:57], v[86:87], s[8:9], v[76:77]
	v_fma_f64 v[54:55], v[60:61], s[8:9], v[78:79]
	;; [unrolled: 1-line block ×7, first 2 shown]
	ds_store_b128 v161, v[44:47]
	ds_store_b128 v161, v[52:55] offset:1536
	ds_store_b128 v161, v[56:59] offset:3072
	ds_store_b128 v162, v[48:51]
	ds_store_b128 v162, v[60:63] offset:1536
	ds_store_b128 v162, v[64:67] offset:3072
	s_and_saveexec_b32 s10, vcc_lo
	s_cbranch_execz .LBB0_17
; %bb.16:
	v_mul_f64_e32 v[44:45], v[74:75], v[40:41]
	v_mul_f64_e32 v[46:47], v[70:71], v[32:33]
	;; [unrolled: 1-line block ×4, first 2 shown]
	s_delay_alu instid0(VALU_DEP_4) | instskip(NEXT) | instid1(VALU_DEP_4)
	v_fma_f64 v[42:43], v[72:73], v[42:43], -v[44:45]
	v_fma_f64 v[34:35], v[68:69], v[34:35], -v[46:47]
	s_delay_alu instid0(VALU_DEP_4) | instskip(NEXT) | instid1(VALU_DEP_4)
	v_fma_f64 v[40:41], v[72:73], v[40:41], v[48:49]
	v_fma_f64 v[32:33], v[68:69], v[32:33], v[50:51]
	s_delay_alu instid0(VALU_DEP_4) | instskip(NEXT) | instid1(VALU_DEP_4)
	v_add_f64_e32 v[50:51], v[42:43], v[38:39]
	v_add_f64_e32 v[44:45], v[42:43], v[34:35]
	v_add_f64_e64 v[52:53], v[42:43], -v[34:35]
	s_delay_alu instid0(VALU_DEP_4)
	v_add_f64_e32 v[46:47], v[40:41], v[32:33]
	v_add_f64_e64 v[48:49], v[40:41], -v[32:33]
	v_add_f64_e32 v[40:41], v[40:41], v[36:37]
	v_add_f64_e32 v[34:35], v[34:35], v[50:51]
	v_fma_f64 v[44:45], v[44:45], -0.5, v[38:39]
	v_fma_f64 v[36:37], v[46:47], -0.5, v[36:37]
	s_delay_alu instid0(VALU_DEP_4) | instskip(NEXT) | instid1(VALU_DEP_3)
	v_add_f64_e32 v[32:33], v[40:41], v[32:33]
	v_fma_f64 v[42:43], v[48:49], s[8:9], v[44:45]
	v_fma_f64 v[38:39], v[48:49], s[0:1], v[44:45]
	s_delay_alu instid0(VALU_DEP_4)
	v_fma_f64 v[40:41], v[52:53], s[0:1], v[36:37]
	v_fma_f64 v[36:37], v[52:53], s[8:9], v[36:37]
	v_lshlrev_b32_e32 v44, 4, v160
	ds_store_b128 v44, v[32:35] offset:13824
	ds_store_b128 v44, v[40:43] offset:15360
	;; [unrolled: 1-line block ×3, first 2 shown]
.LBB0_17:
	s_wait_alu 0xfffe
	s_or_b32 exec_lo, exec_lo, s10
	global_wb scope:SCOPE_SE
	s_wait_dscnt 0x0
	s_barrier_signal -1
	s_barrier_wait -1
	global_inv scope:SCOPE_SE
	ds_load_b128 v[32:35], v154 offset:4608
	ds_load_b128 v[36:39], v154 offset:9216
	;; [unrolled: 1-line block ×6, first 2 shown]
	s_mul_u64 s[0:1], s[4:5], 0x1200
	s_wait_dscnt 0x5
	v_mul_f64_e32 v[56:57], v[102:103], v[34:35]
	v_mul_f64_e32 v[58:59], v[102:103], v[32:33]
	s_wait_dscnt 0x4
	v_mul_f64_e32 v[60:61], v[98:99], v[38:39]
	v_mul_f64_e32 v[62:63], v[98:99], v[36:37]
	s_wait_dscnt 0x3
	v_mul_f64_e32 v[64:65], v[94:95], v[42:43]
	v_mul_f64_e32 v[66:67], v[94:95], v[40:41]
	s_wait_dscnt 0x2
	v_mul_f64_e32 v[68:69], v[114:115], v[46:47]
	v_mul_f64_e32 v[70:71], v[114:115], v[44:45]
	s_wait_dscnt 0x1
	v_mul_f64_e32 v[72:73], v[110:111], v[50:51]
	v_mul_f64_e32 v[74:75], v[110:111], v[48:49]
	s_wait_dscnt 0x0
	v_mul_f64_e32 v[76:77], v[106:107], v[54:55]
	v_mul_f64_e32 v[78:79], v[106:107], v[52:53]
	v_fma_f64 v[56:57], v[100:101], v[32:33], v[56:57]
	v_fma_f64 v[58:59], v[100:101], v[34:35], -v[58:59]
	v_fma_f64 v[60:61], v[96:97], v[36:37], v[60:61]
	v_fma_f64 v[62:63], v[96:97], v[38:39], -v[62:63]
	;; [unrolled: 2-line block ×6, first 2 shown]
	ds_load_b128 v[32:35], v154
	ds_load_b128 v[36:39], v154 offset:2304
	s_wait_dscnt 0x1
	v_add_f64_e64 v[60:61], v[32:33], -v[60:61]
	v_add_f64_e64 v[62:63], v[34:35], -v[62:63]
	;; [unrolled: 1-line block ×4, first 2 shown]
	s_wait_dscnt 0x0
	v_add_f64_e64 v[64:65], v[36:37], -v[48:49]
	v_add_f64_e64 v[66:67], v[38:39], -v[50:51]
	;; [unrolled: 1-line block ×4, first 2 shown]
	v_fma_f64 v[68:69], v[32:33], 2.0, -v[60:61]
	v_fma_f64 v[70:71], v[34:35], 2.0, -v[62:63]
	;; [unrolled: 1-line block ×4, first 2 shown]
	v_add_f64_e32 v[32:33], v[60:61], v[42:43]
	v_add_f64_e64 v[34:35], v[62:63], -v[40:41]
	v_fma_f64 v[72:73], v[36:37], 2.0, -v[64:65]
	v_fma_f64 v[74:75], v[38:39], 2.0, -v[66:67]
	v_fma_f64 v[44:45], v[44:45], 2.0, -v[48:49]
	v_fma_f64 v[46:47], v[46:47], 2.0, -v[50:51]
	v_add_f64_e32 v[36:37], v[64:65], v[50:51]
	v_add_f64_e64 v[38:39], v[66:67], -v[48:49]
	v_add_f64_e64 v[40:41], v[68:69], -v[52:53]
	;; [unrolled: 1-line block ×3, first 2 shown]
	v_fma_f64 v[48:49], v[60:61], 2.0, -v[32:33]
	v_fma_f64 v[50:51], v[62:63], 2.0, -v[34:35]
	v_add_f64_e64 v[44:45], v[72:73], -v[44:45]
	v_add_f64_e64 v[46:47], v[74:75], -v[46:47]
	v_fma_f64 v[52:53], v[64:65], 2.0, -v[36:37]
	v_fma_f64 v[54:55], v[66:67], 2.0, -v[38:39]
	v_mad_co_u64_u32 v[64:65], null, s6, v152, 0
	v_mad_co_u64_u32 v[66:67], null, s4, v153, 0
	s_delay_alu instid0(VALU_DEP_1) | instskip(NEXT) | instid1(VALU_DEP_1)
	v_mad_co_u64_u32 v[84:85], null, s7, v152, v[65:66]
	v_mov_b32_e32 v65, v84
	s_delay_alu instid0(VALU_DEP_1)
	v_lshlrev_b64_e32 v[64:65], 4, v[64:65]
	v_fma_f64 v[56:57], v[68:69], 2.0, -v[40:41]
	v_fma_f64 v[58:59], v[70:71], 2.0, -v[42:43]
	;; [unrolled: 1-line block ×4, first 2 shown]
	ds_store_b128 v154, v[32:35] offset:13824
	ds_store_b128 v154, v[36:39] offset:16128
	;; [unrolled: 1-line block ×6, first 2 shown]
	ds_store_b128 v154, v[56:59]
	ds_store_b128 v154, v[60:63] offset:2304
	global_wb scope:SCOPE_SE
	s_wait_dscnt 0x0
	s_barrier_signal -1
	s_barrier_wait -1
	global_inv scope:SCOPE_SE
	ds_load_b128 v[32:35], v154
	ds_load_b128 v[36:39], v154 offset:4608
	ds_load_b128 v[40:43], v154 offset:9216
	;; [unrolled: 1-line block ×7, first 2 shown]
	s_wait_dscnt 0x7
	v_mul_f64_e32 v[68:69], v[14:15], v[34:35]
	v_mul_f64_e32 v[14:15], v[14:15], v[32:33]
	s_wait_dscnt 0x6
	v_mul_f64_e32 v[70:71], v[18:19], v[38:39]
	v_mul_f64_e32 v[18:19], v[18:19], v[36:37]
	;; [unrolled: 3-line block ×8, first 2 shown]
	v_fma_f64 v[32:33], v[12:13], v[32:33], v[68:69]
	v_fma_f64 v[12:13], v[12:13], v[34:35], -v[14:15]
	v_fma_f64 v[14:15], v[16:17], v[36:37], v[70:71]
	v_fma_f64 v[16:17], v[16:17], v[38:39], -v[18:19]
	;; [unrolled: 2-line block ×8, first 2 shown]
	v_mad_co_u64_u32 v[85:86], null, s5, v153, v[67:68]
	v_add_co_u32 v2, vcc_lo, s2, v64
	s_wait_alu 0xfffd
	v_add_co_ci_u32_e32 v3, vcc_lo, s3, v65, vcc_lo
	s_mov_b32 s2, 0x1c71c71c
	s_mov_b32 s3, 0x3f4c71c7
	s_delay_alu instid0(VALU_DEP_3) | instskip(NEXT) | instid1(VALU_DEP_1)
	v_mov_b32_e32 v67, v85
	v_lshlrev_b64_e32 v[0:1], 4, v[66:67]
	s_delay_alu instid0(VALU_DEP_1) | instskip(SKIP_1) | instid1(VALU_DEP_2)
	v_add_co_u32 v50, vcc_lo, v2, v0
	s_wait_alu 0xfffd
	v_add_co_ci_u32_e32 v51, vcc_lo, v3, v1, vcc_lo
	s_wait_alu 0xfffe
	v_mul_f64_e32 v[0:1], s[2:3], v[32:33]
	v_add_co_u32 v52, vcc_lo, v50, s0
	s_wait_alu 0xfffd
	v_add_co_ci_u32_e32 v53, vcc_lo, s1, v51, vcc_lo
	v_mul_f64_e32 v[2:3], s[2:3], v[12:13]
	v_mul_f64_e32 v[4:5], s[2:3], v[14:15]
	;; [unrolled: 1-line block ×5, first 2 shown]
	v_add_co_u32 v54, vcc_lo, v52, s0
	v_mul_f64_e32 v[12:13], s[2:3], v[36:37]
	v_mul_f64_e32 v[14:15], s[2:3], v[38:39]
	;; [unrolled: 1-line block ×4, first 2 shown]
	s_wait_alu 0xfffd
	v_add_co_ci_u32_e32 v55, vcc_lo, s1, v53, vcc_lo
	v_mul_f64_e32 v[20:21], s[2:3], v[44:45]
	v_mul_f64_e32 v[22:23], s[2:3], v[22:23]
	;; [unrolled: 1-line block ×6, first 2 shown]
	v_add_co_u32 v32, vcc_lo, v54, s0
	s_wait_alu 0xfffd
	v_add_co_ci_u32_e32 v33, vcc_lo, s1, v55, vcc_lo
	s_mul_i32 s2, s5, 0xffffd300
	s_wait_alu 0xfffe
	s_sub_co_i32 s2, s2, s4
	s_delay_alu instid0(VALU_DEP_1) | instskip(SKIP_1) | instid1(VALU_DEP_1)
	v_mad_co_u64_u32 v[34:35], null, 0xffffd300, s4, v[32:33]
	s_wait_alu 0xfffe
	v_add_nc_u32_e32 v35, s2, v35
	s_delay_alu instid0(VALU_DEP_2) | instskip(SKIP_1) | instid1(VALU_DEP_2)
	v_add_co_u32 v36, vcc_lo, v34, s0
	s_wait_alu 0xfffd
	v_add_co_ci_u32_e32 v37, vcc_lo, s1, v35, vcc_lo
	s_delay_alu instid0(VALU_DEP_2) | instskip(SKIP_1) | instid1(VALU_DEP_2)
	v_add_co_u32 v38, vcc_lo, v36, s0
	s_wait_alu 0xfffd
	v_add_co_ci_u32_e32 v39, vcc_lo, s1, v37, vcc_lo
	;; [unrolled: 4-line block ×3, first 2 shown]
	s_clause 0x4
	global_store_b128 v[50:51], v[0:3], off
	global_store_b128 v[52:53], v[4:7], off
	;; [unrolled: 1-line block ×8, first 2 shown]
.LBB0_18:
	s_nop 0
	s_sendmsg sendmsg(MSG_DEALLOC_VGPRS)
	s_endpgm
	.section	.rodata,"a",@progbits
	.p2align	6, 0x0
	.amdhsa_kernel bluestein_single_back_len1152_dim1_dp_op_CI_CI
		.amdhsa_group_segment_fixed_size 18432
		.amdhsa_private_segment_fixed_size 0
		.amdhsa_kernarg_size 104
		.amdhsa_user_sgpr_count 2
		.amdhsa_user_sgpr_dispatch_ptr 0
		.amdhsa_user_sgpr_queue_ptr 0
		.amdhsa_user_sgpr_kernarg_segment_ptr 1
		.amdhsa_user_sgpr_dispatch_id 0
		.amdhsa_user_sgpr_private_segment_size 0
		.amdhsa_wavefront_size32 1
		.amdhsa_uses_dynamic_stack 0
		.amdhsa_enable_private_segment 0
		.amdhsa_system_sgpr_workgroup_id_x 1
		.amdhsa_system_sgpr_workgroup_id_y 0
		.amdhsa_system_sgpr_workgroup_id_z 0
		.amdhsa_system_sgpr_workgroup_info 0
		.amdhsa_system_vgpr_workitem_id 0
		.amdhsa_next_free_vgpr 217
		.amdhsa_next_free_sgpr 16
		.amdhsa_reserve_vcc 1
		.amdhsa_float_round_mode_32 0
		.amdhsa_float_round_mode_16_64 0
		.amdhsa_float_denorm_mode_32 3
		.amdhsa_float_denorm_mode_16_64 3
		.amdhsa_fp16_overflow 0
		.amdhsa_workgroup_processor_mode 1
		.amdhsa_memory_ordered 1
		.amdhsa_forward_progress 0
		.amdhsa_round_robin_scheduling 0
		.amdhsa_exception_fp_ieee_invalid_op 0
		.amdhsa_exception_fp_denorm_src 0
		.amdhsa_exception_fp_ieee_div_zero 0
		.amdhsa_exception_fp_ieee_overflow 0
		.amdhsa_exception_fp_ieee_underflow 0
		.amdhsa_exception_fp_ieee_inexact 0
		.amdhsa_exception_int_div_zero 0
	.end_amdhsa_kernel
	.text
.Lfunc_end0:
	.size	bluestein_single_back_len1152_dim1_dp_op_CI_CI, .Lfunc_end0-bluestein_single_back_len1152_dim1_dp_op_CI_CI
                                        ; -- End function
	.section	.AMDGPU.csdata,"",@progbits
; Kernel info:
; codeLenInByte = 9632
; NumSgprs: 18
; NumVgprs: 217
; ScratchSize: 0
; MemoryBound: 0
; FloatMode: 240
; IeeeMode: 1
; LDSByteSize: 18432 bytes/workgroup (compile time only)
; SGPRBlocks: 2
; VGPRBlocks: 27
; NumSGPRsForWavesPerEU: 18
; NumVGPRsForWavesPerEU: 217
; Occupancy: 6
; WaveLimiterHint : 1
; COMPUTE_PGM_RSRC2:SCRATCH_EN: 0
; COMPUTE_PGM_RSRC2:USER_SGPR: 2
; COMPUTE_PGM_RSRC2:TRAP_HANDLER: 0
; COMPUTE_PGM_RSRC2:TGID_X_EN: 1
; COMPUTE_PGM_RSRC2:TGID_Y_EN: 0
; COMPUTE_PGM_RSRC2:TGID_Z_EN: 0
; COMPUTE_PGM_RSRC2:TIDIG_COMP_CNT: 0
	.text
	.p2alignl 7, 3214868480
	.fill 96, 4, 3214868480
	.type	__hip_cuid_4c0dcd7b786d2487,@object ; @__hip_cuid_4c0dcd7b786d2487
	.section	.bss,"aw",@nobits
	.globl	__hip_cuid_4c0dcd7b786d2487
__hip_cuid_4c0dcd7b786d2487:
	.byte	0                               ; 0x0
	.size	__hip_cuid_4c0dcd7b786d2487, 1

	.ident	"AMD clang version 19.0.0git (https://github.com/RadeonOpenCompute/llvm-project roc-6.4.0 25133 c7fe45cf4b819c5991fe208aaa96edf142730f1d)"
	.section	".note.GNU-stack","",@progbits
	.addrsig
	.addrsig_sym __hip_cuid_4c0dcd7b786d2487
	.amdgpu_metadata
---
amdhsa.kernels:
  - .args:
      - .actual_access:  read_only
        .address_space:  global
        .offset:         0
        .size:           8
        .value_kind:     global_buffer
      - .actual_access:  read_only
        .address_space:  global
        .offset:         8
        .size:           8
        .value_kind:     global_buffer
      - .actual_access:  read_only
        .address_space:  global
        .offset:         16
        .size:           8
        .value_kind:     global_buffer
      - .actual_access:  read_only
        .address_space:  global
        .offset:         24
        .size:           8
        .value_kind:     global_buffer
      - .actual_access:  read_only
        .address_space:  global
        .offset:         32
        .size:           8
        .value_kind:     global_buffer
      - .offset:         40
        .size:           8
        .value_kind:     by_value
      - .address_space:  global
        .offset:         48
        .size:           8
        .value_kind:     global_buffer
      - .address_space:  global
        .offset:         56
        .size:           8
        .value_kind:     global_buffer
      - .address_space:  global
        .offset:         64
        .size:           8
        .value_kind:     global_buffer
      - .address_space:  global
        .offset:         72
        .size:           8
        .value_kind:     global_buffer
      - .offset:         80
        .size:           4
        .value_kind:     by_value
      - .address_space:  global
        .offset:         88
        .size:           8
        .value_kind:     global_buffer
      - .address_space:  global
        .offset:         96
        .size:           8
        .value_kind:     global_buffer
    .group_segment_fixed_size: 18432
    .kernarg_segment_align: 8
    .kernarg_segment_size: 104
    .language:       OpenCL C
    .language_version:
      - 2
      - 0
    .max_flat_workgroup_size: 144
    .name:           bluestein_single_back_len1152_dim1_dp_op_CI_CI
    .private_segment_fixed_size: 0
    .sgpr_count:     18
    .sgpr_spill_count: 0
    .symbol:         bluestein_single_back_len1152_dim1_dp_op_CI_CI.kd
    .uniform_work_group_size: 1
    .uses_dynamic_stack: false
    .vgpr_count:     217
    .vgpr_spill_count: 0
    .wavefront_size: 32
    .workgroup_processor_mode: 1
amdhsa.target:   amdgcn-amd-amdhsa--gfx1201
amdhsa.version:
  - 1
  - 2
...

	.end_amdgpu_metadata
